;; amdgpu-corpus repo=ROCm/rocFFT kind=compiled arch=gfx950 opt=O3
	.text
	.amdgcn_target "amdgcn-amd-amdhsa--gfx950"
	.amdhsa_code_object_version 6
	.protected	fft_rtc_fwd_len676_factors_13_13_4_wgs_52_tpt_52_half_op_CI_CI_sbrr_dirReg ; -- Begin function fft_rtc_fwd_len676_factors_13_13_4_wgs_52_tpt_52_half_op_CI_CI_sbrr_dirReg
	.globl	fft_rtc_fwd_len676_factors_13_13_4_wgs_52_tpt_52_half_op_CI_CI_sbrr_dirReg
	.p2align	8
	.type	fft_rtc_fwd_len676_factors_13_13_4_wgs_52_tpt_52_half_op_CI_CI_sbrr_dirReg,@function
fft_rtc_fwd_len676_factors_13_13_4_wgs_52_tpt_52_half_op_CI_CI_sbrr_dirReg: ; @fft_rtc_fwd_len676_factors_13_13_4_wgs_52_tpt_52_half_op_CI_CI_sbrr_dirReg
; %bb.0:
	s_load_dwordx4 s[12:15], s[0:1], 0x18
	s_load_dwordx4 s[4:7], s[0:1], 0x0
	;; [unrolled: 1-line block ×3, first 2 shown]
	v_mul_u32_u24_e32 v1, 0x4ed, v0
	v_add_u32_sdwa v10, s2, v1 dst_sel:DWORD dst_unused:UNUSED_PAD src0_sel:DWORD src1_sel:WORD_1
	s_waitcnt lgkmcnt(0)
	s_load_dwordx2 s[18:19], s[12:13], 0x0
	s_load_dwordx2 s[16:17], s[14:15], 0x0
	v_mov_b32_e32 v8, 0
	v_cmp_lt_u64_e64 s[2:3], s[6:7], 2
	v_mov_b32_e32 v11, v8
	s_and_b64 vcc, exec, s[2:3]
	v_mov_b64_e32 v[6:7], 0
	s_cbranch_vccnz .LBB0_8
; %bb.1:
	s_load_dwordx2 s[2:3], s[0:1], 0x10
	s_add_u32 s20, s14, 8
	s_addc_u32 s21, s15, 0
	s_add_u32 s22, s12, 8
	s_addc_u32 s23, s13, 0
	s_waitcnt lgkmcnt(0)
	s_add_u32 s24, s2, 8
	v_mov_b64_e32 v[6:7], 0
	s_addc_u32 s25, s3, 0
	s_mov_b64 s[26:27], 1
	v_mov_b64_e32 v[2:3], v[6:7]
.LBB0_2:                                ; =>This Inner Loop Header: Depth=1
	s_load_dwordx2 s[28:29], s[24:25], 0x0
                                        ; implicit-def: $vgpr4_vgpr5
	s_waitcnt lgkmcnt(0)
	v_or_b32_e32 v9, s29, v11
	v_cmp_ne_u64_e32 vcc, 0, v[8:9]
	s_and_saveexec_b64 s[2:3], vcc
	s_xor_b64 s[30:31], exec, s[2:3]
	s_cbranch_execz .LBB0_4
; %bb.3:                                ;   in Loop: Header=BB0_2 Depth=1
	v_cvt_f32_u32_e32 v1, s28
	v_cvt_f32_u32_e32 v4, s29
	s_sub_u32 s2, 0, s28
	s_subb_u32 s3, 0, s29
	v_fmac_f32_e32 v1, 0x4f800000, v4
	v_rcp_f32_e32 v1, v1
	s_nop 0
	v_mul_f32_e32 v1, 0x5f7ffffc, v1
	v_mul_f32_e32 v4, 0x2f800000, v1
	v_trunc_f32_e32 v4, v4
	v_fmac_f32_e32 v1, 0xcf800000, v4
	v_cvt_u32_f32_e32 v9, v4
	v_cvt_u32_f32_e32 v1, v1
	v_mul_lo_u32 v4, s2, v9
	v_mul_hi_u32 v12, s2, v1
	v_mul_lo_u32 v5, s3, v1
	v_add_u32_e32 v12, v12, v4
	v_mul_lo_u32 v14, s2, v1
	v_add_u32_e32 v15, v12, v5
	v_mul_hi_u32 v4, v1, v14
	v_mul_hi_u32 v13, v1, v15
	v_mul_lo_u32 v12, v1, v15
	v_mov_b32_e32 v5, v8
	v_lshl_add_u64 v[4:5], v[4:5], 0, v[12:13]
	v_mul_hi_u32 v13, v9, v14
	v_mul_lo_u32 v14, v9, v14
	v_add_co_u32_e32 v4, vcc, v4, v14
	v_mul_hi_u32 v12, v9, v15
	s_nop 0
	v_addc_co_u32_e32 v4, vcc, v5, v13, vcc
	v_mov_b32_e32 v5, v8
	s_nop 0
	v_addc_co_u32_e32 v13, vcc, 0, v12, vcc
	v_mul_lo_u32 v12, v9, v15
	v_lshl_add_u64 v[4:5], v[4:5], 0, v[12:13]
	v_add_co_u32_e32 v1, vcc, v1, v4
	v_mul_lo_u32 v12, s2, v1
	s_nop 0
	v_addc_co_u32_e32 v9, vcc, v9, v5, vcc
	v_mul_lo_u32 v4, s2, v9
	v_mul_hi_u32 v5, s2, v1
	v_add_u32_e32 v4, v5, v4
	v_mul_lo_u32 v5, s3, v1
	v_add_u32_e32 v14, v4, v5
	v_mul_hi_u32 v16, v9, v12
	v_mul_lo_u32 v17, v9, v12
	v_mul_hi_u32 v5, v1, v14
	v_mul_lo_u32 v4, v1, v14
	v_mul_hi_u32 v12, v1, v12
	v_mov_b32_e32 v13, v8
	v_lshl_add_u64 v[4:5], v[12:13], 0, v[4:5]
	v_add_co_u32_e32 v4, vcc, v4, v17
	v_mul_hi_u32 v15, v9, v14
	s_nop 0
	v_addc_co_u32_e32 v4, vcc, v5, v16, vcc
	v_mul_lo_u32 v12, v9, v14
	s_nop 0
	v_addc_co_u32_e32 v13, vcc, 0, v15, vcc
	v_mov_b32_e32 v5, v8
	v_lshl_add_u64 v[4:5], v[4:5], 0, v[12:13]
	v_add_co_u32_e32 v1, vcc, v1, v4
	v_mul_hi_u32 v12, v10, v1
	s_nop 0
	v_addc_co_u32_e32 v9, vcc, v9, v5, vcc
	v_mad_u64_u32 v[4:5], s[2:3], v10, v9, 0
	v_mov_b32_e32 v13, v8
	v_lshl_add_u64 v[4:5], v[12:13], 0, v[4:5]
	v_mad_u64_u32 v[14:15], s[2:3], v11, v1, 0
	v_add_co_u32_e32 v1, vcc, v4, v14
	v_mad_u64_u32 v[12:13], s[2:3], v11, v9, 0
	s_nop 0
	v_addc_co_u32_e32 v4, vcc, v5, v15, vcc
	v_mov_b32_e32 v5, v8
	s_nop 0
	v_addc_co_u32_e32 v13, vcc, 0, v13, vcc
	v_lshl_add_u64 v[4:5], v[4:5], 0, v[12:13]
	v_mul_lo_u32 v1, s29, v4
	v_mul_lo_u32 v9, s28, v5
	v_mad_u64_u32 v[12:13], s[2:3], s28, v4, 0
	v_add3_u32 v1, v13, v9, v1
	v_sub_u32_e32 v9, v11, v1
	v_mov_b32_e32 v13, s29
	v_sub_co_u32_e32 v16, vcc, v10, v12
	v_lshl_add_u64 v[14:15], v[4:5], 0, 1
	s_nop 0
	v_subb_co_u32_e64 v9, s[2:3], v9, v13, vcc
	v_subrev_co_u32_e64 v12, s[2:3], s28, v16
	v_subb_co_u32_e32 v1, vcc, v11, v1, vcc
	s_nop 0
	v_subbrev_co_u32_e64 v9, s[2:3], 0, v9, s[2:3]
	v_cmp_le_u32_e64 s[2:3], s29, v9
	v_cmp_le_u32_e32 vcc, s29, v1
	s_nop 0
	v_cndmask_b32_e64 v13, 0, -1, s[2:3]
	v_cmp_le_u32_e64 s[2:3], s28, v12
	s_nop 1
	v_cndmask_b32_e64 v12, 0, -1, s[2:3]
	v_cmp_eq_u32_e64 s[2:3], s29, v9
	s_nop 1
	v_cndmask_b32_e64 v9, v13, v12, s[2:3]
	v_lshl_add_u64 v[12:13], v[4:5], 0, 2
	v_cmp_ne_u32_e64 s[2:3], 0, v9
	s_nop 1
	v_cndmask_b32_e64 v9, v15, v13, s[2:3]
	v_cndmask_b32_e64 v13, 0, -1, vcc
	v_cmp_le_u32_e32 vcc, s28, v16
	s_nop 1
	v_cndmask_b32_e64 v15, 0, -1, vcc
	v_cmp_eq_u32_e32 vcc, s29, v1
	s_nop 1
	v_cndmask_b32_e32 v1, v13, v15, vcc
	v_cmp_ne_u32_e32 vcc, 0, v1
	v_cndmask_b32_e64 v1, v14, v12, s[2:3]
	s_nop 0
	v_cndmask_b32_e32 v5, v5, v9, vcc
	v_cndmask_b32_e32 v4, v4, v1, vcc
.LBB0_4:                                ;   in Loop: Header=BB0_2 Depth=1
	s_andn2_saveexec_b64 s[2:3], s[30:31]
	s_cbranch_execz .LBB0_6
; %bb.5:                                ;   in Loop: Header=BB0_2 Depth=1
	v_cvt_f32_u32_e32 v1, s28
	s_sub_i32 s30, 0, s28
	v_rcp_iflag_f32_e32 v1, v1
	s_nop 0
	v_mul_f32_e32 v1, 0x4f7ffffe, v1
	v_cvt_u32_f32_e32 v1, v1
	v_mul_lo_u32 v4, s30, v1
	v_mul_hi_u32 v4, v1, v4
	v_add_u32_e32 v1, v1, v4
	v_mul_hi_u32 v1, v10, v1
	v_mul_lo_u32 v4, v1, s28
	v_sub_u32_e32 v4, v10, v4
	v_add_u32_e32 v5, 1, v1
	v_subrev_u32_e32 v9, s28, v4
	v_cmp_le_u32_e32 vcc, s28, v4
	s_nop 1
	v_cndmask_b32_e32 v4, v4, v9, vcc
	v_cndmask_b32_e32 v1, v1, v5, vcc
	v_add_u32_e32 v5, 1, v1
	v_cmp_le_u32_e32 vcc, s28, v4
	s_nop 1
	v_cndmask_b32_e32 v4, v1, v5, vcc
	v_mov_b32_e32 v5, v8
.LBB0_6:                                ;   in Loop: Header=BB0_2 Depth=1
	s_or_b64 exec, exec, s[2:3]
	v_mad_u64_u32 v[12:13], s[2:3], v4, s28, 0
	s_load_dwordx2 s[2:3], s[22:23], 0x0
	v_mul_lo_u32 v1, v5, s28
	v_mul_lo_u32 v9, v4, s29
	s_load_dwordx2 s[28:29], s[20:21], 0x0
	s_add_u32 s26, s26, 1
	v_add3_u32 v1, v13, v9, v1
	v_sub_co_u32_e32 v9, vcc, v10, v12
	s_addc_u32 s27, s27, 0
	s_nop 0
	v_subb_co_u32_e32 v1, vcc, v11, v1, vcc
	s_add_u32 s20, s20, 8
	s_waitcnt lgkmcnt(0)
	v_mul_lo_u32 v10, s2, v1
	v_mul_lo_u32 v11, s3, v9
	v_mad_u64_u32 v[6:7], s[2:3], s2, v9, v[6:7]
	s_addc_u32 s21, s21, 0
	v_add3_u32 v7, v11, v7, v10
	v_mul_lo_u32 v1, s28, v1
	v_mul_lo_u32 v10, s29, v9
	v_mad_u64_u32 v[2:3], s[2:3], s28, v9, v[2:3]
	s_add_u32 s22, s22, 8
	v_add3_u32 v3, v10, v3, v1
	s_addc_u32 s23, s23, 0
	v_mov_b64_e32 v[10:11], s[6:7]
	s_add_u32 s24, s24, 8
	v_cmp_ge_u64_e32 vcc, s[26:27], v[10:11]
	s_addc_u32 s25, s25, 0
	s_cbranch_vccnz .LBB0_9
; %bb.7:                                ;   in Loop: Header=BB0_2 Depth=1
	v_mov_b64_e32 v[10:11], v[4:5]
	s_branch .LBB0_2
.LBB0_8:
	v_mov_b64_e32 v[2:3], v[6:7]
	v_mov_b64_e32 v[4:5], v[10:11]
.LBB0_9:
	s_load_dwordx2 s[0:1], s[0:1], 0x28
	s_lshl_b64 s[6:7], s[6:7], 3
	s_add_u32 s2, s14, s6
	s_addc_u32 s3, s15, s7
                                        ; implicit-def: $sgpr14
                                        ; implicit-def: $vgpr18
                                        ; implicit-def: $vgpr20
                                        ; implicit-def: $vgpr21
                                        ; implicit-def: $vgpr19
	s_waitcnt lgkmcnt(0)
	v_cmp_gt_u64_e32 vcc, s[0:1], v[4:5]
	v_cmp_le_u64_e64 s[0:1], s[0:1], v[4:5]
	s_and_saveexec_b64 s[20:21], s[0:1]
	s_xor_b64 s[0:1], exec, s[20:21]
; %bb.10:
	s_mov_b32 s14, 0x4ec4ec5
	v_mul_hi_u32 v1, v0, s14
	v_mul_u32_u24_e32 v1, 52, v1
	v_sub_u32_e32 v18, v0, v1
	v_add_u32_e32 v20, 52, v18
	v_add_u32_e32 v21, 0x68, v18
	v_add_u32_e32 v19, 0x9c, v18
	s_mov_b32 s14, 0
                                        ; implicit-def: $vgpr0
                                        ; implicit-def: $vgpr6_vgpr7
; %bb.11:
	s_or_saveexec_b64 s[0:1], s[0:1]
	v_mov_b32_e32 v28, s14
                                        ; implicit-def: $vgpr33
                                        ; implicit-def: $vgpr30
                                        ; implicit-def: $vgpr29
                                        ; implicit-def: $vgpr24
                                        ; implicit-def: $vgpr25
                                        ; implicit-def: $vgpr16
                                        ; implicit-def: $vgpr22
                                        ; implicit-def: $vgpr12
                                        ; implicit-def: $vgpr14
                                        ; implicit-def: $vgpr9
                                        ; implicit-def: $vgpr10
                                        ; implicit-def: $vgpr1
                                        ; implicit-def: $vgpr11
                                        ; implicit-def: $vgpr8
                                        ; implicit-def: $vgpr15
                                        ; implicit-def: $vgpr13
                                        ; implicit-def: $vgpr23
                                        ; implicit-def: $vgpr17
                                        ; implicit-def: $vgpr27
                                        ; implicit-def: $vgpr26
                                        ; implicit-def: $vgpr32
                                        ; implicit-def: $vgpr31
                                        ; implicit-def: $vgpr35
                                        ; implicit-def: $vgpr34
	s_xor_b64 exec, exec, s[0:1]
	s_cbranch_execz .LBB0_13
; %bb.12:
	s_add_u32 s6, s12, s6
	s_addc_u32 s7, s13, s7
	s_load_dwordx2 s[6:7], s[6:7], 0x0
	s_mov_b32 s12, 0x4ec4ec5
	s_waitcnt lgkmcnt(0)
	v_mul_lo_u32 v1, s7, v4
	v_mul_lo_u32 v10, s6, v5
	v_mad_u64_u32 v[8:9], s[6:7], s6, v4, 0
	v_add3_u32 v9, v9, v10, v1
	v_mul_hi_u32 v1, v0, s12
	v_mul_u32_u24_e32 v1, 52, v1
	v_sub_u32_e32 v18, v0, v1
	v_mad_u64_u32 v[0:1], s[6:7], s18, v18, 0
	v_mov_b32_e32 v10, v1
	v_mad_u64_u32 v[10:11], s[6:7], s19, v18, v[10:11]
	v_lshl_add_u64 v[8:9], v[8:9], 2, s[8:9]
	v_mov_b32_e32 v1, v10
	v_lshl_add_u64 v[6:7], v[6:7], 2, v[8:9]
	v_add_u32_e32 v20, 52, v18
	v_lshl_add_u64 v[10:11], v[0:1], 2, v[6:7]
	v_mad_u64_u32 v[0:1], s[6:7], s18, v20, 0
	v_mov_b32_e32 v8, v1
	v_mad_u64_u32 v[8:9], s[6:7], s19, v20, v[8:9]
	v_mov_b32_e32 v1, v8
	v_add_u32_e32 v21, 0x68, v18
	v_lshl_add_u64 v[14:15], v[0:1], 2, v[6:7]
	v_mad_u64_u32 v[0:1], s[6:7], s18, v21, 0
	v_mov_b32_e32 v8, v1
	v_mad_u64_u32 v[8:9], s[6:7], s19, v21, v[8:9]
	v_mov_b32_e32 v1, v8
	;; [unrolled: 6-line block ×7, first 2 shown]
	v_lshl_add_u64 v[36:37], v[0:1], 2, v[6:7]
	global_load_dword v30, v[14:15], off
	global_load_dword v24, v[22:23], off
	;; [unrolled: 1-line block ×7, first 2 shown]
	v_add_u32_e32 v13, 0x1a0, v18
	v_mad_u64_u32 v[14:15], s[6:7], s18, v13, 0
	v_mov_b32_e32 v0, v15
	s_waitcnt vmcnt(4)
	v_lshrrev_b32_e32 v25, 16, v16
	s_waitcnt vmcnt(1)
	v_mad_u64_u32 v[22:23], s[6:7], s19, v13, v[0:1]
	v_add_u32_e32 v13, 0x1d4, v18
	v_mov_b32_e32 v15, v22
	v_mad_u64_u32 v[22:23], s[6:7], s18, v13, 0
	v_mov_b32_e32 v0, v23
	v_mad_u64_u32 v[26:27], s[6:7], s19, v13, v[0:1]
	v_add_u32_e32 v13, 0x208, v18
	v_mov_b32_e32 v23, v26
	v_mad_u64_u32 v[26:27], s[6:7], s18, v13, 0
	v_mov_b32_e32 v0, v27
	v_mad_u64_u32 v[28:29], s[6:7], s19, v13, v[0:1]
	v_mov_b32_e32 v27, v28
	v_add_u32_e32 v13, 0x23c, v18
	v_lshl_add_u64 v[32:33], v[26:27], 2, v[6:7]
	v_mad_u64_u32 v[26:27], s[6:7], s18, v13, 0
	v_mov_b32_e32 v0, v27
	v_mad_u64_u32 v[28:29], s[6:7], s19, v13, v[0:1]
	v_mov_b32_e32 v27, v28
	v_add_u32_e32 v13, 0x270, v18
	v_lshl_add_u64 v[36:37], v[26:27], 2, v[6:7]
	v_mad_u64_u32 v[26:27], s[6:7], s18, v13, 0
	v_mov_b32_e32 v0, v27
	v_mad_u64_u32 v[28:29], s[6:7], s19, v13, v[0:1]
	v_lshl_add_u64 v[14:15], v[14:15], 2, v[6:7]
	v_mov_b32_e32 v27, v28
	v_lshl_add_u64 v[22:23], v[22:23], 2, v[6:7]
	v_lshl_add_u64 v[6:7], v[26:27], 2, v[6:7]
	global_load_dword v13, v[14:15], off
	global_load_dword v17, v[22:23], off
	;; [unrolled: 1-line block ×6, first 2 shown]
	v_lshrrev_b32_e32 v33, 16, v30
	v_lshrrev_b32_e32 v29, 16, v24
	;; [unrolled: 1-line block ×5, first 2 shown]
	s_waitcnt vmcnt(6)
	v_lshrrev_b32_e32 v11, 16, v8
	s_waitcnt vmcnt(5)
	v_lshrrev_b32_e32 v15, 16, v13
	;; [unrolled: 2-line block ×6, first 2 shown]
.LBB0_13:
	s_or_b64 exec, exec, s[0:1]
	s_waitcnt vmcnt(0)
	v_add_f16_e32 v0, v30, v28
	v_add_f16_sdwa v6, v33, v28 dst_sel:DWORD dst_unused:UNUSED_PAD src0_sel:DWORD src1_sel:WORD_1
	v_add_f16_e32 v0, v24, v0
	v_add_f16_e32 v6, v29, v6
	;; [unrolled: 1-line block ×21, first 2 shown]
	v_add_f16_sdwa v6, v35, v6 dst_sel:WORD_1 dst_unused:UNUSED_PAD src0_sel:DWORD src1_sel:DWORD
	v_add_f16_e32 v7, v33, v35
	v_or_b32_e32 v0, v6, v0
	v_add_f16_e32 v6, v30, v34
	v_sub_f16_e32 v30, v30, v34
	v_sub_f16_e32 v33, v33, v35
	s_movk_i32 s6, 0x3b15
	v_mul_f16_e32 v34, 0x3b15, v6
	s_movk_i32 s15, 0x3770
	s_mov_b32 s19, 0xb770
	v_mul_f16_e32 v36, 0xb770, v30
	s_movk_i32 s1, 0x388b
	v_mul_f16_e32 v38, 0x388b, v6
	s_movk_i32 s13, 0x3a95
	s_mov_b32 s18, 0xba95
	v_mul_f16_e32 v40, 0xba95, v30
	s_movk_i32 s0, 0x2fb7
	v_mul_f16_e32 v42, 0x2fb7, v6
	s_movk_i32 s12, 0x3bf1
	s_mov_b32 s14, 0xbbf1
	v_mul_f16_e32 v44, 0xbbf1, v30
	s_mov_b32 s7, 0xb5ac
	v_mul_f16_e32 v46, 0xb5ac, v6
	s_movk_i32 s21, 0x3b7b
	s_mov_b32 s20, 0xbb7b
	v_mul_f16_e32 v48, 0xbb7b, v30
	s_mov_b32 s8, 0xb9fd
	v_mul_f16_e32 v50, 0xb9fd, v6
	s_movk_i32 s23, 0x394e
	s_mov_b32 s22, 0xb94e
	v_mul_f16_e32 v52, 0xb94e, v30
	;; [unrolled: 5-line block ×3, first 2 shown]
	v_fma_f16 v35, v33, s15, v34
	v_fma_f16 v37, v7, s6, v36
	v_fma_f16 v34, v33, s19, v34
	v_fma_f16 v36, v7, s6, -v36
	v_fma_f16 v39, v33, s13, v38
	v_fma_f16 v41, v7, s1, v40
	v_fma_f16 v38, v33, s18, v38
	v_fma_f16 v40, v7, s1, -v40
	;; [unrolled: 4-line block ×6, first 2 shown]
	v_add_f16_e32 v35, v35, v28
	v_add_f16_sdwa v37, v37, v28 dst_sel:DWORD dst_unused:UNUSED_PAD src0_sel:DWORD src1_sel:WORD_1
	v_add_f16_e32 v34, v34, v28
	v_add_f16_sdwa v36, v36, v28 dst_sel:DWORD dst_unused:UNUSED_PAD src0_sel:DWORD src1_sel:WORD_1
	;; [unrolled: 2-line block ×12, first 2 shown]
	v_add_f16_e32 v28, v24, v31
	v_add_f16_e32 v30, v29, v32
	v_sub_f16_e32 v24, v24, v31
	v_sub_f16_e32 v29, v29, v32
	v_mul_f16_e32 v31, 0x388b, v28
	v_fma_f16 v32, v29, s13, v31
	v_mul_f16_e32 v33, 0xba95, v24
	v_fma_f16 v31, v29, s18, v31
	v_add_f16_e32 v32, v32, v35
	v_fma_f16 v35, v30, s1, v33
	v_add_f16_e32 v31, v31, v34
	v_fma_f16 v33, v30, s1, -v33
	v_mul_f16_e32 v34, 0xb5ac, v28
	v_add_f16_e32 v35, v35, v37
	v_add_f16_e32 v33, v33, v36
	v_fma_f16 v36, v29, s21, v34
	v_mul_f16_e32 v37, 0xbb7b, v24
	v_fma_f16 v34, v29, s20, v34
	v_add_f16_e32 v36, v36, v39
	v_fma_f16 v39, v30, s7, v37
	v_add_f16_e32 v34, v34, v38
	v_fma_f16 v37, v30, s7, -v37
	v_mul_f16_e32 v38, 0xbbc4, v28
	v_add_f16_e32 v39, v39, v41
	v_add_f16_e32 v37, v37, v40
	;; [unrolled: 10-line block ×4, first 2 shown]
	v_fma_f16 v48, v29, s14, v46
	v_mul_f16_e32 v49, 0x3bf1, v24
	v_add_f16_e32 v48, v48, v51
	v_fma_f16 v51, v30, s0, v49
	v_fma_f16 v49, v30, s0, -v49
	v_mul_f16_e32 v24, 0x3770, v24
	v_fma_f16 v46, v29, s12, v46
	v_add_f16_e32 v49, v49, v52
	v_mul_f16_e32 v28, 0x3b15, v28
	v_fma_f16 v52, v30, s6, v24
	v_fma_f16 v24, v30, s6, -v24
	v_add_f16_e32 v46, v46, v50
	v_fma_f16 v50, v29, s19, v28
	v_fma_f16 v28, v29, s15, v28
	v_add_f16_e32 v7, v24, v7
	v_add_f16_e32 v24, v16, v26
	;; [unrolled: 1-line block ×4, first 2 shown]
	v_sub_f16_e32 v16, v16, v26
	v_sub_f16_e32 v25, v25, v27
	v_mul_f16_e32 v26, 0x2fb7, v24
	v_fma_f16 v27, v25, s12, v26
	v_mul_f16_e32 v29, 0xbbf1, v16
	v_fma_f16 v26, v25, s14, v26
	v_fma_f16 v30, v28, s0, v29
	v_add_f16_e32 v26, v26, v31
	v_fma_f16 v29, v28, s0, -v29
	v_mul_f16_e32 v31, 0xbbc4, v24
	v_add_f16_e32 v27, v27, v32
	v_add_f16_e32 v29, v29, v33
	v_fma_f16 v32, v25, s25, v31
	v_mul_f16_e32 v33, 0xb3a8, v16
	v_fma_f16 v31, v25, s24, v31
	v_add_f16_e32 v30, v30, v35
	v_fma_f16 v35, v28, s9, v33
	v_add_f16_e32 v31, v31, v34
	v_fma_f16 v33, v28, s9, -v33
	v_mul_f16_e32 v34, 0xb5ac, v24
	v_add_f16_e32 v32, v32, v36
	v_add_f16_e32 v33, v33, v37
	v_fma_f16 v36, v25, s20, v34
	v_mul_f16_e32 v37, 0x3b7b, v16
	v_fma_f16 v34, v25, s21, v34
	v_add_f16_e32 v35, v35, v39
	;; [unrolled: 10-line block ×3, first 2 shown]
	v_fma_f16 v43, v28, s6, v41
	v_add_f16_e32 v38, v38, v42
	v_fma_f16 v41, v28, s6, -v41
	v_mul_f16_e32 v42, 0x388b, v24
	v_add_f16_e32 v40, v40, v44
	v_add_f16_e32 v41, v41, v45
	v_fma_f16 v44, v25, s13, v42
	v_mul_f16_e32 v45, 0xba95, v16
	v_mul_f16_e32 v16, 0xb94e, v16
	v_add_f16_e32 v44, v44, v48
	v_fma_f16 v42, v25, s18, v42
	v_mul_f16_e32 v24, 0xb9fd, v24
	v_fma_f16 v48, v28, s8, v16
	v_fma_f16 v16, v28, s8, -v16
	v_add_f16_e32 v42, v42, v46
	v_fma_f16 v46, v25, s23, v24
	v_fma_f16 v24, v25, s22, v24
	v_add_f16_e32 v7, v16, v7
	v_add_f16_e32 v16, v12, v17
	v_add_f16_e32 v6, v24, v6
	v_add_f16_e32 v24, v22, v23
	v_sub_f16_e32 v12, v12, v17
	v_sub_f16_e32 v17, v22, v23
	v_mul_f16_e32 v22, 0xb5ac, v16
	v_fma_f16 v23, v17, s21, v22
	v_mul_f16_e32 v25, 0xbb7b, v12
	v_fma_f16 v22, v17, s20, v22
	v_add_f16_e32 v23, v23, v27
	v_fma_f16 v27, v24, s7, v25
	v_add_f16_e32 v22, v22, v26
	v_fma_f16 v25, v24, s7, -v25
	v_mul_f16_e32 v26, 0xb9fd, v16
	v_add_f16_e32 v43, v43, v47
	v_fma_f16 v47, v28, s1, v45
	v_fma_f16 v45, v28, s1, -v45
	v_add_f16_e32 v25, v25, v29
	v_fma_f16 v28, v17, s22, v26
	v_mul_f16_e32 v29, 0x394e, v12
	v_fma_f16 v26, v17, s23, v26
	v_add_f16_e32 v27, v27, v30
	v_fma_f16 v30, v24, s8, v29
	v_add_f16_e32 v26, v26, v31
	v_fma_f16 v29, v24, s8, -v29
	v_mul_f16_e32 v31, 0x3b15, v16
	v_add_f16_e32 v28, v28, v32
	v_add_f16_e32 v29, v29, v33
	v_fma_f16 v32, v17, s19, v31
	v_mul_f16_e32 v33, 0x3770, v12
	v_fma_f16 v31, v17, s15, v31
	v_add_f16_e32 v30, v30, v35
	v_fma_f16 v35, v24, s6, v33
	v_add_f16_e32 v31, v31, v34
	v_fma_f16 v33, v24, s6, -v33
	v_mul_f16_e32 v34, 0x2fb7, v16
	v_add_f16_e32 v32, v32, v36
	v_add_f16_e32 v33, v33, v37
	v_fma_f16 v36, v17, s12, v34
	v_mul_f16_e32 v37, 0xbbf1, v12
	v_fma_f16 v34, v17, s14, v34
	v_add_f16_e32 v35, v35, v39
	v_fma_f16 v39, v24, s0, v37
	v_add_f16_e32 v34, v34, v38
	v_fma_f16 v37, v24, s0, -v37
	v_mul_f16_e32 v38, 0xbbc4, v16
	v_add_f16_e32 v36, v36, v40
	v_add_f16_e32 v37, v37, v41
	v_fma_f16 v40, v17, s24, v38
	v_mul_f16_e32 v41, 0x33a8, v12
	v_mul_f16_e32 v12, 0x3a95, v12
	v_add_f16_e32 v40, v40, v44
	v_fma_f16 v38, v17, s25, v38
	v_mul_f16_e32 v16, 0x388b, v16
	v_fma_f16 v44, v24, s1, v12
	v_fma_f16 v12, v24, s1, -v12
	v_add_f16_e32 v38, v38, v42
	v_fma_f16 v42, v17, s18, v16
	v_fma_f16 v16, v17, s13, v16
	v_add_f16_e32 v7, v12, v7
	v_add_f16_e32 v12, v9, v13
	v_add_f16_e32 v6, v16, v6
	v_add_f16_e32 v16, v14, v15
	v_sub_f16_e32 v9, v9, v13
	v_sub_f16_e32 v13, v14, v15
	v_mul_f16_e32 v14, 0xb9fd, v12
	v_fma_f16 v15, v13, s23, v14
	v_mul_f16_e32 v17, 0xb94e, v9
	v_fma_f16 v14, v13, s22, v14
	v_add_f16_e32 v15, v15, v23
	v_fma_f16 v23, v16, s8, v17
	v_add_f16_e32 v14, v14, v22
	v_fma_f16 v17, v16, s8, -v17
	v_mul_f16_e32 v22, 0x2fb7, v12
	v_add_f16_e32 v39, v39, v43
	v_fma_f16 v43, v24, s9, v41
	v_fma_f16 v41, v24, s9, -v41
	v_add_f16_e32 v17, v17, v25
	v_fma_f16 v24, v13, s14, v22
	v_mul_f16_e32 v25, 0x3bf1, v9
	v_fma_f16 v22, v13, s12, v22
	v_add_f16_e32 v23, v23, v27
	v_fma_f16 v27, v16, s0, v25
	v_add_f16_e32 v22, v22, v26
	v_fma_f16 v25, v16, s0, -v25
	v_mul_f16_e32 v26, 0x388b, v12
	v_add_f16_e32 v24, v24, v28
	v_add_f16_e32 v25, v25, v29
	v_fma_f16 v28, v13, s13, v26
	v_mul_f16_e32 v29, 0xba95, v9
	v_fma_f16 v26, v13, s18, v26
	v_add_f16_e32 v27, v27, v30
	v_fma_f16 v30, v16, s1, v29
	v_add_f16_e32 v26, v26, v31
	v_fma_f16 v29, v16, s1, -v29
	v_mul_f16_e32 v31, 0xbbc4, v12
	v_add_f16_e32 v28, v28, v32
	v_add_f16_e32 v29, v29, v33
	v_fma_f16 v32, v13, s24, v31
	v_mul_f16_e32 v33, 0x33a8, v9
	v_fma_f16 v31, v13, s25, v31
	v_add_f16_e32 v30, v30, v35
	;; [unrolled: 60-line block ×3, first 2 shown]
	v_fma_f16 v30, v12, s1, v29
	v_add_f16_e32 v26, v26, v31
	v_fma_f16 v29, v12, s1, -v29
	v_mul_f16_e32 v31, 0xb5ac, v9
	v_add_f16_e32 v51, v51, v53
	v_add_f16_e32 v50, v50, v54
	;; [unrolled: 1-line block ×5, first 2 shown]
	v_fma_f16 v32, v8, s21, v31
	v_mul_f16_e32 v33, 0xbb7b, v1
	v_mul_f16_e32 v1, 0x3bf1, v1
	v_add_f16_e32 v47, v47, v51
	v_add_f16_e32 v46, v46, v50
	;; [unrolled: 1-line block ×4, first 2 shown]
	v_fma_f16 v31, v8, s20, v31
	v_mul_f16_e32 v9, 0x2fb7, v9
	v_fma_f16 v36, v12, s0, v1
	v_fma_f16 v1, v12, s0, -v1
	v_add_f16_e32 v45, v45, v49
	v_add_f16_e32 v43, v43, v47
	;; [unrolled: 1-line block ×5, first 2 shown]
	v_fma_f16 v34, v8, s14, v9
	v_fma_f16 v8, v8, s12, v9
	v_add_f16_e32 v7, v1, v7
	v_mad_u32_u24 v1, v18, 52, 0
	v_add_f16_e32 v41, v41, v45
	v_add_f16_e32 v39, v39, v43
	v_add_f16_e32 v38, v38, v42
	v_add_f16_e32 v40, v40, v44
	v_add_f16_e32 v30, v30, v35
	v_fma_f16 v35, v12, s7, v33
	v_add_f16_e32 v6, v8, v6
	ds_write_b32 v1, v0
	v_pack_b32_f16 v0, v16, v23
	v_pack_b32_f16 v8, v11, v15
	v_add_f16_e32 v37, v37, v41
	v_add_f16_e32 v35, v35, v39
	v_fma_f16 v33, v12, s7, -v33
	v_add_f16_e32 v34, v34, v38
	v_add_f16_e32 v36, v36, v40
	ds_write2_b32 v1, v8, v0 offset0:1 offset1:2
	v_pack_b32_f16 v0, v28, v30
	v_pack_b32_f16 v8, v24, v27
	v_add_f16_e32 v33, v33, v37
	ds_write2_b32 v1, v8, v0 offset0:3 offset1:4
	v_pack_b32_f16 v0, v34, v36
	v_pack_b32_f16 v8, v32, v35
	ds_write2_b32 v1, v8, v0 offset0:5 offset1:6
	v_pack_b32_f16 v0, v31, v33
	v_pack_b32_f16 v6, v6, v7
	;; [unrolled: 3-line block ×4, first 2 shown]
	s_movk_i32 s12, 0x4f
	ds_write2_b32 v1, v6, v0 offset0:11 offset1:12
	v_mul_lo_u16_sdwa v0, v18, s12 dst_sel:DWORD dst_unused:UNUSED_PAD src0_sel:BYTE_0 src1_sel:DWORD
	v_lshrrev_b16_e32 v0, 10, v0
	v_mul_lo_u16_e32 v6, 13, v0
	v_sub_u16_e32 v7, v18, v6
	v_mov_b32_e32 v6, 12
	v_mul_u32_u24_sdwa v6, v7, v6 dst_sel:DWORD dst_unused:UNUSED_PAD src0_sel:BYTE_0 src1_sel:DWORD
	v_lshlrev_b32_e32 v6, 2, v6
	s_load_dwordx2 s[2:3], s[2:3], 0x0
	s_waitcnt lgkmcnt(0)
	; wave barrier
	s_waitcnt lgkmcnt(0)
	global_load_dwordx4 v[24:27], v6, s[4:5]
	global_load_dwordx4 v[28:31], v6, s[4:5] offset:16
	global_load_dwordx4 v[32:35], v6, s[4:5] offset:32
	s_movk_i32 s12, 0xffd0
	v_mad_i32_i24 v14, v18, s12, v1
	v_lshl_add_u32 v22, v21, 2, 0
	v_add_u32_e32 v10, 0x400, v14
	ds_read2_b32 v[8:9], v14 offset1:208
	v_lshl_add_u32 v23, v20, 2, 0
	ds_read2_b32 v[12:13], v10 offset0:4 offset1:56
	v_lshl_add_u32 v6, v19, 2, 0
	ds_read_b32 v11, v22
	ds_read_b32 v15, v23
	ds_read_b32 v17, v6
	ds_read2_b32 v[36:37], v10 offset0:108 offset1:160
	v_add_u32_e32 v16, 0x600, v14
	s_waitcnt lgkmcnt(4)
	v_lshrrev_b32_e32 v42, 16, v12
	s_waitcnt lgkmcnt(2)
	v_lshrrev_b32_e32 v50, 16, v15
	v_lshrrev_b32_e32 v43, 16, v13
	ds_read2_b32 v[38:39], v16 offset0:84 offset1:136
	s_waitcnt lgkmcnt(1)
	v_lshrrev_b32_e32 v44, 16, v36
	v_add_u32_e32 v16, 0x800, v14
	v_lshrrev_b32_e32 v45, 16, v37
	ds_read2_b32 v[40:41], v16 offset0:60 offset1:112
	s_waitcnt lgkmcnt(1)
	v_lshrrev_b32_e32 v46, 16, v38
	v_lshrrev_b32_e32 v47, 16, v39
	v_mul_u32_u24_e32 v0, 0x2a4, v0
	s_waitcnt lgkmcnt(0)
	v_lshrrev_b32_e32 v48, 16, v40
	v_lshrrev_b32_e32 v49, 16, v41
	; wave barrier
	s_waitcnt vmcnt(2)
	v_mul_f16_e32 v51, v24, v15
	v_lshrrev_b32_e32 v52, 16, v24
	v_fma_f16 v50, -v52, v50, v51
	v_pk_mul_f16 v15, v24, v15 op_sel:[0,1] op_sel_hi:[1,0]
	v_lshrrev_b32_e32 v24, 16, v11
	v_mul_f16_e32 v51, v25, v11
	v_lshrrev_b32_e32 v52, 16, v25
	v_fma_f16 v24, -v52, v24, v51
	v_pk_mul_f16 v11, v25, v11 op_sel:[0,1] op_sel_hi:[1,0]
	v_lshrrev_b32_e32 v25, 16, v17
	;; [unrolled: 5-line block ×3, first 2 shown]
	v_mul_f16_e32 v51, v27, v9
	v_lshrrev_b32_e32 v52, 16, v27
	v_pk_mul_f16 v9, v27, v9 op_sel:[0,1] op_sel_hi:[1,0]
	s_waitcnt vmcnt(1)
	v_mul_f16_sdwa v27, v42, v28 dst_sel:DWORD dst_unused:UNUSED_PAD src0_sel:DWORD src1_sel:WORD_1
	v_fma_f16 v27, v12, v28, -v27
	v_mul_f16_sdwa v12, v12, v28 dst_sel:DWORD dst_unused:UNUSED_PAD src0_sel:DWORD src1_sel:WORD_1
	v_fma_f16 v12, v42, v28, v12
	v_mul_f16_sdwa v28, v43, v29 dst_sel:DWORD dst_unused:UNUSED_PAD src0_sel:DWORD src1_sel:WORD_1
	v_fma_f16 v28, v13, v29, -v28
	v_mul_f16_sdwa v13, v13, v29 dst_sel:DWORD dst_unused:UNUSED_PAD src0_sel:DWORD src1_sel:WORD_1
	v_fma_f16 v13, v43, v29, v13
	;; [unrolled: 4-line block ×4, first 2 shown]
	s_waitcnt vmcnt(0)
	v_mul_f16_sdwa v37, v46, v32 dst_sel:DWORD dst_unused:UNUSED_PAD src0_sel:DWORD src1_sel:WORD_1
	v_fma_f16 v37, v38, v32, -v37
	v_mul_f16_sdwa v38, v38, v32 dst_sel:DWORD dst_unused:UNUSED_PAD src0_sel:DWORD src1_sel:WORD_1
	v_fma_f16 v32, v46, v32, v38
	v_mul_f16_sdwa v38, v47, v33 dst_sel:DWORD dst_unused:UNUSED_PAD src0_sel:DWORD src1_sel:WORD_1
	v_fma_f16 v38, v39, v33, -v38
	v_mul_f16_sdwa v39, v39, v33 dst_sel:DWORD dst_unused:UNUSED_PAD src0_sel:DWORD src1_sel:WORD_1
	v_fma_f16 v33, v47, v33, v39
	v_mul_f16_sdwa v39, v48, v34 dst_sel:DWORD dst_unused:UNUSED_PAD src0_sel:DWORD src1_sel:WORD_1
	v_fma_f16 v39, v40, v34, -v39
	v_mul_f16_sdwa v40, v40, v34 dst_sel:DWORD dst_unused:UNUSED_PAD src0_sel:DWORD src1_sel:WORD_1
	v_fma_f16 v34, v48, v34, v40
	v_mul_f16_sdwa v40, v49, v35 dst_sel:DWORD dst_unused:UNUSED_PAD src0_sel:DWORD src1_sel:WORD_1
	v_fma_f16 v40, v41, v35, -v40
	v_mul_f16_sdwa v41, v41, v35 dst_sel:DWORD dst_unused:UNUSED_PAD src0_sel:DWORD src1_sel:WORD_1
	v_add_f16_sdwa v15, v15, v15 dst_sel:DWORD dst_unused:UNUSED_PAD src0_sel:DWORD src1_sel:WORD_1
	v_fma_f16 v35, v49, v35, v41
	v_sub_f16_e32 v43, v15, v35
	v_fma_f16 v26, -v52, v26, v51
	v_add_f16_e32 v41, v50, v40
	v_mul_f16_e32 v44, 0xb770, v43
	v_mul_f16_e32 v46, 0xba95, v43
	;; [unrolled: 1-line block ×6, first 2 shown]
	v_fma_f16 v45, v41, s6, -v44
	v_fma_f16 v44, v41, s6, v44
	v_fma_f16 v47, v41, s1, -v46
	v_fma_f16 v46, v41, s1, v46
	;; [unrolled: 2-line block ×6, first 2 shown]
	v_sub_f16_e32 v43, v50, v40
	v_add_f16_e32 v42, v15, v35
	v_mul_f16_e32 v56, 0xb770, v43
	v_mul_f16_e32 v58, 0xba95, v43
	;; [unrolled: 1-line block ×6, first 2 shown]
	v_add_f16_sdwa v15, v15, v8 dst_sel:DWORD dst_unused:UNUSED_PAD src0_sel:DWORD src1_sel:WORD_1
	v_add_f16_sdwa v11, v11, v11 dst_sel:DWORD dst_unused:UNUSED_PAD src0_sel:DWORD src1_sel:WORD_1
	v_fma_f16 v57, v42, s6, v56
	v_fma_f16 v56, v42, s6, -v56
	v_fma_f16 v59, v42, s1, v58
	v_fma_f16 v58, v42, s1, -v58
	;; [unrolled: 2-line block ×6, first 2 shown]
	v_add_f16_e32 v43, v50, v8
	v_add_f16_sdwa v17, v17, v17 dst_sel:DWORD dst_unused:UNUSED_PAD src0_sel:DWORD src1_sel:WORD_1
	v_add_f16_e32 v15, v15, v11
	v_add_f16_e32 v45, v45, v8
	v_add_f16_sdwa v50, v57, v8 dst_sel:DWORD dst_unused:UNUSED_PAD src0_sel:DWORD src1_sel:WORD_1
	v_add_f16_e32 v44, v44, v8
	v_add_f16_sdwa v56, v56, v8 dst_sel:DWORD dst_unused:UNUSED_PAD src0_sel:DWORD src1_sel:WORD_1
	;; [unrolled: 2-line block ×13, first 2 shown]
	v_add_f16_e32 v15, v15, v17
	v_add_f16_e32 v42, v42, v25
	;; [unrolled: 1-line block ×20, first 2 shown]
	v_sub_f16_e32 v24, v24, v39
	v_add_f16_e32 v39, v11, v34
	v_sub_f16_e32 v11, v11, v34
	v_mul_f16_e32 v34, 0xba95, v11
	v_add_f16_e32 v40, v42, v40
	v_fma_f16 v42, v35, s1, -v34
	v_mul_f16_e32 v43, 0xba95, v24
	v_fma_f16 v34, v35, s1, v34
	v_add_f16_e32 v42, v42, v45
	v_fma_f16 v45, v39, s1, v43
	v_add_f16_e32 v34, v34, v44
	v_mul_f16_e32 v44, 0xbb7b, v11
	v_add_f16_e32 v45, v45, v50
	v_fma_f16 v50, v35, s7, -v44
	v_fma_f16 v43, v39, s1, -v43
	v_add_f16_e32 v47, v50, v47
	v_mul_f16_e32 v50, 0xbb7b, v24
	v_fma_f16 v44, v35, s7, v44
	v_add_f16_e32 v43, v43, v56
	v_fma_f16 v56, v39, s7, v50
	v_add_f16_e32 v44, v44, v46
	v_fma_f16 v46, v39, s7, -v50
	v_mul_f16_e32 v50, 0xb3a8, v11
	v_add_f16_e32 v56, v56, v57
	v_fma_f16 v57, v35, s9, -v50
	v_add_f16_e32 v49, v57, v49
	v_mul_f16_e32 v57, 0xb3a8, v24
	v_fma_f16 v50, v35, s9, v50
	v_add_f16_e32 v46, v46, v58
	v_fma_f16 v58, v39, s9, v57
	v_add_f16_e32 v48, v50, v48
	v_fma_f16 v50, v39, s9, -v57
	v_mul_f16_e32 v57, 0x394e, v11
	v_add_f16_e32 v58, v58, v59
	;; [unrolled: 10-line block ×3, first 2 shown]
	v_fma_f16 v61, v35, s0, -v59
	v_add_f16_e32 v54, v61, v54
	v_mul_f16_e32 v61, 0x3bf1, v24
	v_fma_f16 v59, v35, s0, v59
	v_mul_f16_e32 v11, 0x3770, v11
	v_add_f16_e32 v57, v57, v62
	v_fma_f16 v62, v39, s0, v61
	v_add_f16_e32 v53, v59, v53
	v_fma_f16 v59, v39, s0, -v61
	v_fma_f16 v61, v35, s6, -v11
	v_mul_f16_e32 v24, 0x3770, v24
	v_add_f16_e32 v55, v61, v55
	v_fma_f16 v61, v39, s6, v24
	v_fma_f16 v11, v35, s6, v11
	v_fma_f16 v24, v39, s6, -v24
	v_add_f16_e32 v35, v17, v33
	v_sub_f16_e32 v17, v17, v33
	v_add_f16_e32 v8, v24, v8
	v_add_f16_e32 v24, v25, v38
	v_sub_f16_e32 v25, v25, v38
	v_mul_f16_e32 v33, 0xbbf1, v17
	v_fma_f16 v38, v24, s0, -v33
	v_mul_f16_e32 v39, 0xbbf1, v25
	v_fma_f16 v33, v24, s0, v33
	v_add_f16_e32 v11, v11, v41
	v_fma_f16 v41, v35, s0, v39
	v_add_f16_e32 v33, v33, v34
	v_fma_f16 v34, v35, s0, -v39
	v_mul_f16_e32 v39, 0xb3a8, v17
	v_add_f16_e32 v38, v38, v42
	v_add_f16_e32 v34, v34, v43
	v_fma_f16 v42, v24, s9, -v39
	v_mul_f16_e32 v43, 0xb3a8, v25
	v_fma_f16 v39, v24, s9, v39
	v_add_f16_e32 v41, v41, v45
	v_fma_f16 v45, v35, s9, v43
	v_add_f16_e32 v39, v39, v44
	v_fma_f16 v43, v35, s9, -v43
	v_mul_f16_e32 v44, 0x3b7b, v17
	v_add_f16_e32 v42, v42, v47
	v_add_f16_e32 v43, v43, v46
	v_fma_f16 v46, v24, s7, -v44
	v_mul_f16_e32 v47, 0x3b7b, v25
	v_fma_f16 v44, v24, s7, v44
	v_add_f16_e32 v46, v46, v49
	v_fma_f16 v49, v35, s7, v47
	v_add_f16_e32 v44, v44, v48
	v_fma_f16 v47, v35, s7, -v47
	v_mul_f16_e32 v48, 0x3770, v17
	v_add_f16_e32 v47, v47, v50
	v_fma_f16 v50, v24, s6, -v48
	v_add_f16_e32 v50, v50, v52
	v_mul_f16_e32 v52, 0x3770, v25
	v_fma_f16 v48, v24, s6, v48
	v_add_f16_e32 v45, v45, v56
	v_fma_f16 v56, v35, s6, v52
	v_add_f16_e32 v48, v48, v51
	v_fma_f16 v51, v35, s6, -v52
	v_mul_f16_e32 v52, 0xba95, v17
	v_add_f16_e32 v51, v51, v57
	v_fma_f16 v57, v24, s1, -v52
	v_add_f16_e32 v54, v57, v54
	v_mul_f16_e32 v57, 0xba95, v25
	v_fma_f16 v52, v24, s1, v52
	v_mul_f16_e32 v17, 0xb94e, v17
	v_add_f16_e32 v49, v49, v58
	v_fma_f16 v58, v35, s1, v57
	v_add_f16_e32 v52, v52, v53
	v_fma_f16 v53, v35, s1, -v57
	v_fma_f16 v57, v24, s8, -v17
	v_mul_f16_e32 v25, 0xb94e, v25
	v_fma_f16 v17, v24, s8, v17
	v_add_f16_e32 v11, v17, v11
	v_fma_f16 v17, v35, s8, -v25
	v_add_f16_e32 v24, v9, v32
	v_sub_f16_e32 v9, v9, v32
	v_add_f16_e32 v55, v57, v55
	v_fma_f16 v57, v35, s8, v25
	v_add_f16_e32 v8, v17, v8
	v_add_f16_e32 v17, v26, v37
	v_sub_f16_e32 v25, v26, v37
	v_mul_f16_e32 v26, 0xbb7b, v9
	v_fma_f16 v32, v17, s7, -v26
	v_mul_f16_e32 v35, 0xbb7b, v25
	v_fma_f16 v26, v17, s7, v26
	v_add_f16_e32 v26, v26, v33
	v_fma_f16 v33, v24, s7, -v35
	v_add_f16_e32 v33, v33, v34
	v_mul_f16_e32 v34, 0x394e, v9
	v_fma_f16 v37, v24, s7, v35
	v_fma_f16 v35, v17, s8, -v34
	v_fma_f16 v34, v17, s8, v34
	v_add_f16_e32 v32, v32, v38
	v_mul_f16_e32 v38, 0x394e, v25
	v_add_f16_e32 v34, v34, v39
	v_mul_f16_e32 v39, 0x3770, v9
	v_add_f16_e32 v37, v37, v41
	v_add_f16_e32 v35, v35, v42
	v_fma_f16 v41, v24, s8, v38
	v_fma_f16 v38, v24, s8, -v38
	v_fma_f16 v42, v17, s6, -v39
	v_fma_f16 v39, v17, s6, v39
	v_add_f16_e32 v38, v38, v43
	v_mul_f16_e32 v43, 0x3770, v25
	v_add_f16_e32 v39, v39, v44
	v_mul_f16_e32 v44, 0xbbf1, v9
	v_add_f16_e32 v41, v41, v45
	v_add_f16_e32 v42, v42, v46
	v_fma_f16 v45, v24, s6, v43
	v_fma_f16 v43, v24, s6, -v43
	;; [unrolled: 10-line block ×3, first 2 shown]
	v_fma_f16 v50, v17, s9, -v48
	v_fma_f16 v48, v17, s9, v48
	v_mul_f16_e32 v9, 0x3a95, v9
	v_add_f16_e32 v59, v59, v64
	v_add_f16_e32 v47, v47, v51
	v_mul_f16_e32 v51, 0x33a8, v25
	v_add_f16_e32 v48, v48, v52
	v_fma_f16 v52, v17, s1, -v9
	v_mul_f16_e32 v25, 0x3a95, v25
	v_fma_f16 v9, v17, s1, v9
	v_add_f16_e32 v53, v53, v59
	v_add_f16_e32 v50, v50, v54
	v_fma_f16 v54, v24, s9, v51
	v_fma_f16 v51, v24, s9, -v51
	v_add_f16_e32 v9, v9, v11
	v_fma_f16 v11, v24, s1, -v25
	v_add_f16_e32 v17, v12, v31
	v_sub_f16_e32 v12, v12, v31
	v_add_f16_e32 v51, v51, v53
	v_fma_f16 v53, v24, s1, v25
	v_add_f16_e32 v8, v11, v8
	v_add_f16_e32 v11, v27, v36
	v_sub_f16_e32 v24, v27, v36
	v_mul_f16_e32 v25, 0xb94e, v12
	v_fma_f16 v27, v11, s8, -v25
	v_mul_f16_e32 v31, 0xb94e, v24
	v_fma_f16 v25, v11, s8, v25
	v_add_f16_e32 v27, v27, v32
	v_fma_f16 v32, v17, s8, v31
	v_add_f16_e32 v25, v25, v26
	v_fma_f16 v26, v17, s8, -v31
	v_mul_f16_e32 v31, 0x3bf1, v12
	v_add_f16_e32 v26, v26, v33
	v_fma_f16 v33, v11, s0, -v31
	v_add_f16_e32 v33, v33, v35
	v_mul_f16_e32 v35, 0x3bf1, v24
	v_fma_f16 v31, v11, s0, v31
	v_fma_f16 v36, v17, s0, v35
	v_add_f16_e32 v31, v31, v34
	v_fma_f16 v34, v17, s0, -v35
	v_mul_f16_e32 v35, 0xba95, v12
	v_add_f16_e32 v32, v32, v37
	v_fma_f16 v37, v11, s1, -v35
	v_fma_f16 v35, v11, s1, v35
	v_add_f16_e32 v34, v34, v38
	v_mul_f16_e32 v38, 0xba95, v24
	v_add_f16_e32 v35, v35, v39
	v_mul_f16_e32 v39, 0x33a8, v12
	v_add_f16_e32 v36, v36, v41
	v_add_f16_e32 v37, v37, v42
	v_fma_f16 v41, v17, s1, v38
	v_fma_f16 v38, v17, s1, -v38
	v_fma_f16 v42, v11, s9, -v39
	v_fma_f16 v39, v11, s9, v39
	v_add_f16_e32 v38, v38, v43
	v_mul_f16_e32 v43, 0x33a8, v24
	v_add_f16_e32 v39, v39, v44
	v_mul_f16_e32 v44, 0x3770, v12
	v_add_f16_e32 v41, v41, v45
	v_add_f16_e32 v42, v42, v46
	v_fma_f16 v45, v17, s9, v43
	v_fma_f16 v43, v17, s9, -v43
	v_fma_f16 v46, v11, s6, -v44
	v_fma_f16 v44, v11, s6, v44
	v_mul_f16_e32 v12, 0xbb7b, v12
	v_add_f16_e32 v43, v43, v47
	v_mul_f16_e32 v47, 0x3770, v24
	v_add_f16_e32 v44, v44, v48
	v_fma_f16 v48, v11, s7, -v12
	v_mul_f16_e32 v24, 0xbb7b, v24
	v_fma_f16 v11, v11, s7, v12
	v_add_f16_e32 v56, v56, v60
	v_add_f16_e32 v9, v11, v9
	v_fma_f16 v11, v17, s7, -v24
	v_add_f16_e32 v12, v13, v30
	v_sub_f16_e32 v13, v13, v30
	v_add_f16_e32 v49, v49, v56
	v_add_f16_e32 v46, v46, v50
	v_fma_f16 v50, v17, s7, v24
	v_add_f16_e32 v8, v11, v8
	v_add_f16_e32 v11, v28, v29
	v_mul_f16_e32 v24, 0xb3a8, v13
	v_add_f16_e32 v45, v45, v49
	v_fma_f16 v49, v17, s6, v47
	v_fma_f16 v47, v17, s6, -v47
	v_sub_f16_e32 v17, v28, v29
	v_fma_f16 v28, v11, s9, -v24
	v_add_f16_e32 v27, v28, v27
	v_mul_f16_e32 v28, 0xb3a8, v17
	v_fma_f16 v24, v11, s9, v24
	v_add_f16_e32 v24, v24, v25
	v_fma_f16 v25, v12, s9, -v28
	v_add_f16_e32 v25, v25, v26
	v_mul_f16_e32 v26, 0x3770, v13
	v_fma_f16 v29, v12, s9, v28
	v_fma_f16 v28, v11, s6, -v26
	v_fma_f16 v26, v11, s6, v26
	v_mul_f16_e32 v30, 0x3770, v17
	v_add_f16_e32 v26, v26, v31
	v_mul_f16_e32 v31, 0xb94e, v13
	v_add_f16_e32 v29, v29, v32
	v_add_f16_e32 v28, v28, v33
	v_fma_f16 v32, v12, s6, v30
	v_fma_f16 v30, v12, s6, -v30
	v_fma_f16 v33, v11, s8, -v31
	v_fma_f16 v31, v11, s8, v31
	v_add_f16_e32 v30, v30, v34
	v_mul_f16_e32 v34, 0xb94e, v17
	v_add_f16_e32 v31, v31, v35
	v_mul_f16_e32 v35, 0x3a95, v13
	v_add_f16_e32 v32, v32, v36
	v_add_f16_e32 v33, v33, v37
	v_fma_f16 v36, v12, s8, v34
	v_fma_f16 v34, v12, s8, -v34
	v_fma_f16 v37, v11, s1, -v35
	v_fma_f16 v35, v11, s1, v35
	v_add_f16_e32 v34, v34, v38
	v_mul_f16_e32 v38, 0x3a95, v17
	v_add_f16_e32 v35, v35, v39
	v_mul_f16_e32 v39, 0xbb7b, v13
	v_add_f16_e32 v36, v36, v41
	v_add_f16_e32 v37, v37, v42
	v_fma_f16 v41, v12, s1, v38
	v_fma_f16 v38, v12, s1, -v38
	v_fma_f16 v42, v11, s7, -v39
	v_fma_f16 v39, v11, s7, v39
	v_mul_f16_e32 v13, 0x3bf1, v13
	v_add_f16_e32 v38, v38, v43
	v_mul_f16_e32 v43, 0xbb7b, v17
	v_add_f16_e32 v39, v39, v44
	v_fma_f16 v44, v11, s0, -v13
	v_mul_f16_e32 v17, 0x3bf1, v17
	v_fma_f16 v11, v11, s0, v13
	v_add_f16_e32 v62, v62, v63
	v_add_f16_e32 v9, v11, v9
	v_fma_f16 v11, v12, s0, -v17
	v_add_f16_e32 v61, v61, v65
	v_add_f16_e32 v58, v58, v62
	;; [unrolled: 1-line block ×3, first 2 shown]
	v_mov_b32_e32 v11, 2
	v_add_f16_e32 v57, v57, v61
	v_add_f16_e32 v54, v54, v58
	v_lshlrev_b32_sdwa v7, v11, v7 dst_sel:DWORD dst_unused:UNUSED_PAD src0_sel:DWORD src1_sel:BYTE_0
	v_add_f16_e32 v52, v52, v55
	v_add_f16_e32 v53, v53, v57
	;; [unrolled: 1-line block ×4, first 2 shown]
	v_fma_f16 v45, v12, s7, v43
	v_add3_u32 v0, 0, v0, v7
	v_pack_b32_f16 v7, v40, v15
	v_pack_b32_f16 v11, v27, v29
	v_add_f16_e32 v48, v48, v52
	v_add_f16_e32 v50, v50, v53
	;; [unrolled: 1-line block ×4, first 2 shown]
	v_fma_f16 v46, v12, s0, v17
	ds_write2_b32 v0, v7, v11 offset1:13
	v_pack_b32_f16 v7, v28, v32
	v_pack_b32_f16 v11, v33, v36
	v_add_f16_e32 v47, v47, v51
	v_fma_f16 v43, v12, s7, -v43
	v_add_f16_e32 v44, v44, v48
	v_add_f16_e32 v46, v46, v50
	ds_write2_b32 v0, v7, v11 offset0:26 offset1:39
	v_pack_b32_f16 v7, v37, v41
	v_pack_b32_f16 v11, v42, v45
	v_add_f16_e32 v43, v43, v47
	ds_write2_b32 v0, v7, v11 offset0:52 offset1:65
	v_pack_b32_f16 v7, v44, v46
	v_pack_b32_f16 v8, v9, v8
	ds_write2_b32 v0, v7, v8 offset0:78 offset1:91
	v_pack_b32_f16 v7, v39, v43
	v_pack_b32_f16 v8, v35, v38
	;; [unrolled: 3-line block ×3, first 2 shown]
	ds_write2_b32 v0, v7, v8 offset0:130 offset1:143
	v_pack_b32_f16 v7, v24, v25
	ds_write_b32 v0, v7 offset:624
	v_add_u32_e32 v0, 0x200, v14
	s_waitcnt lgkmcnt(0)
	; wave barrier
	s_waitcnt lgkmcnt(0)
	ds_read2_b32 v[8:9], v14 offset1:169
	ds_read2_b32 v[12:13], v10 offset0:82 offset1:134
	ds_read2_b32 v[10:11], v10 offset0:186 offset1:251
	ds_read2_b32 v[14:15], v0 offset0:93 offset1:145
	ds_read2_b32 v[16:17], v16 offset0:47 offset1:99
	ds_read_b32 v28, v23
	ds_read_b32 v29, v22
	v_cmp_gt_u32_e64 s[0:1], 13, v18
                                        ; implicit-def: $vgpr22
                                        ; implicit-def: $vgpr0
                                        ; implicit-def: $vgpr26
                                        ; implicit-def: $vgpr27
                                        ; implicit-def: $vgpr23
	s_and_saveexec_b64 s[6:7], s[0:1]
	s_cbranch_execz .LBB0_15
; %bb.14:
	v_mul_i32_i24_e32 v0, 0xffffffd0, v18
	v_add_u32_e32 v7, v1, v0
	v_add_u32_e32 v0, 0x400, v7
	ds_read_b32 v24, v6
	ds_read2_b32 v[0:1], v0 offset0:69 offset1:238
	ds_read_b32 v23, v7 offset:2652
	s_waitcnt lgkmcnt(2)
	v_lshrrev_b32_e32 v25, 16, v24
	s_waitcnt lgkmcnt(1)
	v_lshrrev_b32_e32 v22, 16, v0
	v_lshrrev_b32_e32 v26, 16, v1
	s_waitcnt lgkmcnt(0)
	v_lshrrev_b32_e32 v27, 16, v23
.LBB0_15:
	s_or_b64 exec, exec, s[6:7]
	s_and_saveexec_b64 s[6:7], vcc
	s_cbranch_execz .LBB0_18
; %bb.16:
	v_mul_i32_i24_e32 v6, 3, v21
	v_mov_b32_e32 v7, 0
	v_lshl_add_u64 v[30:31], v[6:7], 2, s[4:5]
	v_mul_u32_u24_e32 v6, 3, v18
	v_lshlrev_b32_e32 v6, 2, v6
	global_load_dwordx3 v[30:32], v[30:31], off offset:624
	s_waitcnt lgkmcnt(4)
	v_lshrrev_b32_e32 v33, 16, v10
	global_load_dwordx3 v[34:36], v6, s[4:5] offset:624
	v_mul_i32_i24_e32 v6, 3, v20
	v_lshl_add_u64 v[20:21], v[6:7], 2, s[4:5]
	global_load_dwordx3 v[38:40], v[20:21], off offset:624
	v_mul_lo_u32 v37, s3, v4
	v_mul_lo_u32 v41, s2, v5
	v_mad_u64_u32 v[4:5], s[2:3], s2, v4, 0
	v_lshrrev_b32_e32 v43, 16, v12
	v_lshrrev_b32_e32 v42, 16, v13
	v_add3_u32 v5, v5, v41, v37
	s_waitcnt lgkmcnt(1)
	v_lshrrev_b32_e32 v20, 16, v28
	s_waitcnt lgkmcnt(0)
	v_lshrrev_b32_e32 v21, 16, v29
	v_lshrrev_b32_e32 v6, 16, v8
	s_mov_b32 s6, 0x60f25deb
	s_movk_i32 s7, 0xa9
	v_lshl_add_u64 v[4:5], v[4:5], 2, s[10:11]
	v_lshl_add_u64 v[2:3], v[2:3], 2, v[4:5]
	s_movk_i32 s8, 0x2a4
	s_waitcnt vmcnt(2)
	v_lshrrev_b32_e32 v37, 16, v30
	v_lshrrev_b32_e32 v41, 16, v32
	v_mul_f16_sdwa v44, v33, v31 dst_sel:DWORD dst_unused:UNUSED_PAD src0_sel:DWORD src1_sel:WORD_1
	v_mul_f16_sdwa v45, v30, v15 dst_sel:DWORD dst_unused:UNUSED_PAD src0_sel:DWORD src1_sel:WORD_1
	v_mul_f16_sdwa v46, v17, v32 dst_sel:DWORD dst_unused:UNUSED_PAD src0_sel:WORD_1 src1_sel:DWORD
	v_mul_f16_sdwa v47, v10, v31 dst_sel:DWORD dst_unused:UNUSED_PAD src0_sel:DWORD src1_sel:WORD_1
	s_waitcnt vmcnt(1)
	v_mul_f16_sdwa v50, v35, v43 dst_sel:DWORD dst_unused:UNUSED_PAD src0_sel:WORD_1 src1_sel:DWORD
	v_lshrrev_b32_e32 v48, 16, v34
	v_fma_f16 v10, v10, v31, -v44
	v_fma_f16 v44, v37, v15, v45
	v_fma_f16 v45, v17, v41, v46
	;; [unrolled: 1-line block ×3, first 2 shown]
	v_mul_f16_sdwa v33, v37, v15 dst_sel:DWORD dst_unused:UNUSED_PAD src0_sel:DWORD src1_sel:WORD_1
	v_mul_f16_sdwa v37, v17, v41 dst_sel:DWORD dst_unused:UNUSED_PAD src0_sel:WORD_1 src1_sel:DWORD
	s_waitcnt vmcnt(0)
	v_lshrrev_b32_e32 v41, 16, v38
	v_lshrrev_b32_e32 v46, 16, v40
	v_mul_f16_sdwa v47, v39, v42 dst_sel:DWORD dst_unused:UNUSED_PAD src0_sel:WORD_1 src1_sel:DWORD
	v_mul_f16_sdwa v55, v39, v13 dst_sel:DWORD dst_unused:UNUSED_PAD src0_sel:WORD_1 src1_sel:DWORD
	v_fma_f16 v50, v35, v12, -v50
	v_mul_f16_sdwa v12, v35, v12 dst_sel:DWORD dst_unused:UNUSED_PAD src0_sel:WORD_1 src1_sel:DWORD
	v_lshrrev_b32_e32 v49, 16, v36
	v_mul_f16_sdwa v51, v34, v9 dst_sel:DWORD dst_unused:UNUSED_PAD src0_sel:DWORD src1_sel:WORD_1
	v_mul_f16_sdwa v53, v38, v14 dst_sel:DWORD dst_unused:UNUSED_PAD src0_sel:DWORD src1_sel:WORD_1
	;; [unrolled: 1-line block ×3, first 2 shown]
	v_sub_f16_e32 v10, v29, v10
	v_sub_f16_e32 v45, v44, v45
	v_fma_f16 v15, v30, v15, -v33
	v_fma_f16 v17, v17, v32, -v37
	v_fma_f16 v13, v39, v13, -v47
	v_fma_f16 v33, v39, v42, v55
	v_mul_f16_sdwa v37, v41, v14 dst_sel:DWORD dst_unused:UNUSED_PAD src0_sel:DWORD src1_sel:WORD_1
	v_mul_f16_sdwa v39, v46, v16 dst_sel:DWORD dst_unused:UNUSED_PAD src0_sel:DWORD src1_sel:WORD_1
	v_fma_f16 v12, v35, v43, v12
	v_mul_f16_sdwa v35, v48, v9 dst_sel:DWORD dst_unused:UNUSED_PAD src0_sel:DWORD src1_sel:WORD_1
	v_mul_f16_sdwa v52, v36, v11 dst_sel:DWORD dst_unused:UNUSED_PAD src0_sel:DWORD src1_sel:WORD_1
	v_fma_f16 v51, v48, v9, v51
	v_fma_f16 v30, v41, v14, v53
	;; [unrolled: 1-line block ×3, first 2 shown]
	v_sub_f16_e32 v42, v10, v45
	v_sub_f16_e32 v17, v15, v17
	v_fma_f16 v14, v38, v14, -v37
	v_fma_f16 v16, v40, v16, -v39
	;; [unrolled: 1-line block ×3, first 2 shown]
	v_mul_f16_sdwa v34, v49, v11 dst_sel:DWORD dst_unused:UNUSED_PAD src0_sel:DWORD src1_sel:WORD_1
	v_fma_f16 v52, v49, v11, v52
	v_sub_f16_e32 v31, v21, v31
	v_fma_f16 v29, v29, 2.0, -v10
	v_sub_f16_e32 v13, v28, v13
	v_sub_f16_e32 v32, v30, v32
	;; [unrolled: 1-line block ×3, first 2 shown]
	v_fma_f16 v37, v10, 2.0, -v42
	v_fma_f16 v10, v15, 2.0, -v17
	v_sub_f16_e32 v16, v14, v16
	v_fma_f16 v11, v36, v11, -v34
	v_sub_f16_e32 v41, v8, v50
	v_add_f16_e32 v38, v31, v17
	v_sub_f16_e32 v17, v13, v32
	v_fma_f16 v28, v28, 2.0, -v13
	v_fma_f16 v20, v20, 2.0, -v33
	;; [unrolled: 1-line block ×3, first 2 shown]
	v_sub_f16_e32 v32, v29, v10
	v_fma_f16 v10, v14, 2.0, -v16
	v_sub_f16_e32 v11, v9, v11
	v_sub_f16_e32 v14, v20, v30
	;; [unrolled: 1-line block ×5, first 2 shown]
	v_fma_f16 v8, v8, 2.0, -v41
	v_fma_f16 v9, v9, 2.0, -v11
	v_add_f16_e32 v34, v12, v11
	v_sub_f16_e32 v36, v8, v9
	v_fma_f16 v6, v6, 2.0, -v12
	v_fma_f16 v9, v51, 2.0, -v10
	;; [unrolled: 1-line block ×3, first 2 shown]
	v_sub_f16_e32 v12, v6, v9
	v_fma_f16 v43, v6, 2.0, -v12
	v_mul_hi_u32 v6, v18, s6
	v_lshrrev_b32_e32 v6, 6, v6
	v_fma_f16 v21, v21, 2.0, -v31
	v_fma_f16 v44, v44, 2.0, -v45
	v_add_f16_e32 v39, v33, v16
	v_mul_lo_u32 v6, v6, s7
	v_sub_f16_e32 v15, v21, v44
	v_fma_f16 v16, v29, 2.0, -v32
	v_fma_f16 v29, v33, 2.0, -v39
	v_sub_f16_e32 v33, v41, v10
	v_sub_u32_e32 v44, v18, v6
	v_fma_f16 v40, v41, 2.0, -v33
	v_fma_f16 v41, v8, 2.0, -v36
	v_mad_u64_u32 v[8:9], s[2:3], s16, v44, 0
	v_mov_b32_e32 v6, v9
	v_mad_u64_u32 v[10:11], s[2:3], s17, v44, v[6:7]
	v_mov_b32_e32 v9, v10
	v_lshl_add_u64 v[4:5], v[8:9], 2, v[2:3]
	v_pack_b32_f16 v6, v41, v43
	v_add_u32_e32 v8, 0xa9, v44
	global_store_dword v[4:5], v6, off
	v_mad_u64_u32 v[4:5], s[2:3], s16, v8, 0
	v_mov_b32_e32 v6, v5
	v_mad_u64_u32 v[8:9], s[2:3], s17, v8, v[6:7]
	v_mov_b32_e32 v5, v8
	v_lshl_add_u64 v[4:5], v[4:5], 2, v[2:3]
	v_pack_b32_f16 v6, v40, v35
	v_add_u32_e32 v8, 0x152, v44
	global_store_dword v[4:5], v6, off
	;; [unrolled: 8-line block ×3, first 2 shown]
	v_mad_u64_u32 v[4:5], s[2:3], s16, v8, 0
	v_mov_b32_e32 v6, v5
	v_mad_u64_u32 v[8:9], s[2:3], s17, v8, v[6:7]
	v_mov_b32_e32 v5, v8
	v_lshl_add_u64 v[4:5], v[4:5], 2, v[2:3]
	v_pack_b32_f16 v6, v33, v34
	global_store_dword v[4:5], v6, off
	v_add_u32_e32 v4, 52, v18
	v_mul_hi_u32 v5, v4, s6
	v_lshrrev_b32_e32 v5, 6, v5
	v_mul_lo_u32 v6, v5, s7
	v_sub_u32_e32 v4, v4, v6
	v_mad_u64_u32 v[4:5], s[2:3], v5, s8, v[4:5]
	v_mad_u64_u32 v[8:9], s[2:3], s16, v4, 0
	v_mov_b32_e32 v6, v9
	v_mad_u64_u32 v[10:11], s[2:3], s17, v4, v[6:7]
	v_fma_f16 v20, v20, 2.0, -v14
	v_fma_f16 v28, v28, 2.0, -v30
	v_mov_b32_e32 v9, v10
	v_lshl_add_u64 v[8:9], v[8:9], 2, v[2:3]
	v_pack_b32_f16 v5, v28, v20
	global_store_dword v[8:9], v5, off
	v_add_u32_e32 v5, 0xa9, v4
	v_mad_u64_u32 v[8:9], s[2:3], s16, v5, 0
	v_mov_b32_e32 v6, v9
	v_mad_u64_u32 v[10:11], s[2:3], s17, v5, v[6:7]
	v_fma_f16 v13, v13, 2.0, -v17
	v_mov_b32_e32 v9, v10
	v_lshl_add_u64 v[8:9], v[8:9], 2, v[2:3]
	v_pack_b32_f16 v5, v13, v29
	global_store_dword v[8:9], v5, off
	v_add_u32_e32 v5, 0x152, v4
	v_mad_u64_u32 v[8:9], s[2:3], s16, v5, 0
	v_mov_b32_e32 v6, v9
	v_mad_u64_u32 v[10:11], s[2:3], s17, v5, v[6:7]
	v_mov_b32_e32 v9, v10
	v_lshl_add_u64 v[8:9], v[8:9], 2, v[2:3]
	v_pack_b32_f16 v5, v30, v14
	global_store_dword v[8:9], v5, off
	v_add_u32_e32 v8, 0x1fb, v4
	v_mad_u64_u32 v[4:5], s[2:3], s16, v8, 0
	v_mov_b32_e32 v6, v5
	v_mad_u64_u32 v[8:9], s[2:3], s17, v8, v[6:7]
	v_mov_b32_e32 v5, v8
	v_lshl_add_u64 v[4:5], v[4:5], 2, v[2:3]
	v_pack_b32_f16 v6, v17, v39
	global_store_dword v[4:5], v6, off
	v_add_u32_e32 v4, 0x68, v18
	v_mul_hi_u32 v5, v4, s6
	v_lshrrev_b32_e32 v5, 6, v5
	v_mul_lo_u32 v6, v5, s7
	v_sub_u32_e32 v4, v4, v6
	v_mad_u64_u32 v[4:5], s[2:3], v5, s8, v[4:5]
	v_mad_u64_u32 v[8:9], s[2:3], s16, v4, 0
	v_mov_b32_e32 v6, v9
	v_mad_u64_u32 v[10:11], s[2:3], s17, v4, v[6:7]
	v_fma_f16 v21, v21, 2.0, -v15
	v_mov_b32_e32 v9, v10
	v_lshl_add_u64 v[8:9], v[8:9], 2, v[2:3]
	v_pack_b32_f16 v5, v16, v21
	global_store_dword v[8:9], v5, off
	v_add_u32_e32 v5, 0xa9, v4
	v_mad_u64_u32 v[8:9], s[2:3], s16, v5, 0
	v_mov_b32_e32 v6, v9
	v_mad_u64_u32 v[10:11], s[2:3], s17, v5, v[6:7]
	v_fma_f16 v31, v31, 2.0, -v38
	v_mov_b32_e32 v9, v10
	v_lshl_add_u64 v[8:9], v[8:9], 2, v[2:3]
	v_pack_b32_f16 v5, v37, v31
	global_store_dword v[8:9], v5, off
	v_add_u32_e32 v5, 0x152, v4
	v_mad_u64_u32 v[8:9], s[2:3], s16, v5, 0
	v_mov_b32_e32 v6, v9
	v_mad_u64_u32 v[10:11], s[2:3], s17, v5, v[6:7]
	v_mov_b32_e32 v9, v10
	v_lshl_add_u64 v[8:9], v[8:9], 2, v[2:3]
	v_pack_b32_f16 v5, v32, v15
	global_store_dword v[8:9], v5, off
	v_add_u32_e32 v8, 0x1fb, v4
	v_mad_u64_u32 v[4:5], s[2:3], s16, v8, 0
	v_mov_b32_e32 v6, v5
	v_mad_u64_u32 v[8:9], s[2:3], s17, v8, v[6:7]
	v_mov_b32_e32 v5, v8
	v_lshl_add_u64 v[4:5], v[4:5], 2, v[2:3]
	v_pack_b32_f16 v6, v42, v38
	global_store_dword v[4:5], v6, off
	v_add_u32_e32 v4, 0x9c, v18
	v_cmp_gt_u32_e32 vcc, s7, v4
	s_and_b64 exec, exec, vcc
	s_cbranch_execz .LBB0_18
; %bb.17:
	v_add_u32_e32 v5, -13, v18
	v_cndmask_b32_e64 v5, v5, v19, s[0:1]
	v_mul_i32_i24_e32 v6, 3, v5
	v_lshl_add_u64 v[6:7], v[6:7], 2, s[4:5]
	global_load_dwordx3 v[6:8], v[6:7], off offset:624
	v_mad_u64_u32 v[10:11], s[0:1], s16, v4, 0
	v_add_u32_e32 v9, 0x145, v18
	v_add_u32_e32 v13, 0x1ee, v18
	;; [unrolled: 1-line block ×3, first 2 shown]
	v_mov_b32_e32 v12, v11
	v_mad_u64_u32 v[14:15], s[0:1], s16, v9, 0
	v_mad_u64_u32 v[16:17], s[0:1], s16, v13, 0
	;; [unrolled: 1-line block ×4, first 2 shown]
	v_mov_b32_e32 v12, v15
	v_mov_b32_e32 v20, v17
	;; [unrolled: 1-line block ×4, first 2 shown]
	v_mad_u64_u32 v[4:5], s[0:1], s17, v9, v[12:13]
	v_mad_u64_u32 v[12:13], s[0:1], s17, v13, v[20:21]
	;; [unrolled: 1-line block ×3, first 2 shown]
	v_mov_b32_e32 v15, v4
	v_mov_b32_e32 v17, v12
	;; [unrolled: 1-line block ×3, first 2 shown]
	v_lshl_add_u64 v[10:11], v[10:11], 2, v[2:3]
	v_lshl_add_u64 v[4:5], v[14:15], 2, v[2:3]
	;; [unrolled: 1-line block ×4, first 2 shown]
	s_waitcnt vmcnt(0)
	v_mul_f16_sdwa v9, v22, v6 dst_sel:DWORD dst_unused:UNUSED_PAD src0_sel:DWORD src1_sel:WORD_1
	v_mul_f16_sdwa v14, v0, v6 dst_sel:DWORD dst_unused:UNUSED_PAD src0_sel:DWORD src1_sel:WORD_1
	v_mul_f16_sdwa v15, v26, v7 dst_sel:DWORD dst_unused:UNUSED_PAD src0_sel:DWORD src1_sel:WORD_1
	v_mul_f16_sdwa v16, v1, v7 dst_sel:DWORD dst_unused:UNUSED_PAD src0_sel:DWORD src1_sel:WORD_1
	v_mul_f16_sdwa v17, v27, v8 dst_sel:DWORD dst_unused:UNUSED_PAD src0_sel:DWORD src1_sel:WORD_1
	v_mul_f16_sdwa v18, v23, v8 dst_sel:DWORD dst_unused:UNUSED_PAD src0_sel:DWORD src1_sel:WORD_1
	v_fma_f16 v0, v0, v6, -v9
	v_fma_f16 v6, v22, v6, v14
	v_fma_f16 v1, v1, v7, -v15
	v_fma_f16 v7, v26, v7, v16
	v_fma_f16 v9, v23, v8, -v17
	v_fma_f16 v8, v27, v8, v18
	v_sub_f16_e32 v1, v24, v1
	v_sub_f16_e32 v7, v25, v7
	;; [unrolled: 1-line block ×4, first 2 shown]
	v_fma_f16 v14, v24, 2.0, -v1
	v_fma_f16 v15, v25, 2.0, -v7
	;; [unrolled: 1-line block ×4, first 2 shown]
	v_sub_f16_e32 v8, v1, v8
	v_add_f16_e32 v9, v7, v9
	v_sub_f16_e32 v0, v14, v0
	v_sub_f16_e32 v6, v15, v6
	v_fma_f16 v1, v1, 2.0, -v8
	v_fma_f16 v7, v7, 2.0, -v9
	v_pack_b32_f16 v8, v8, v9
	v_fma_f16 v9, v14, 2.0, -v0
	v_fma_f16 v14, v15, 2.0, -v6
	v_pack_b32_f16 v0, v0, v6
	v_pack_b32_f16 v6, v9, v14
	;; [unrolled: 1-line block ×3, first 2 shown]
	global_store_dword v[10:11], v6, off
	global_store_dword v[4:5], v1, off
	;; [unrolled: 1-line block ×4, first 2 shown]
.LBB0_18:
	s_endpgm
	.section	.rodata,"a",@progbits
	.p2align	6, 0x0
	.amdhsa_kernel fft_rtc_fwd_len676_factors_13_13_4_wgs_52_tpt_52_half_op_CI_CI_sbrr_dirReg
		.amdhsa_group_segment_fixed_size 0
		.amdhsa_private_segment_fixed_size 0
		.amdhsa_kernarg_size 104
		.amdhsa_user_sgpr_count 2
		.amdhsa_user_sgpr_dispatch_ptr 0
		.amdhsa_user_sgpr_queue_ptr 0
		.amdhsa_user_sgpr_kernarg_segment_ptr 1
		.amdhsa_user_sgpr_dispatch_id 0
		.amdhsa_user_sgpr_kernarg_preload_length 0
		.amdhsa_user_sgpr_kernarg_preload_offset 0
		.amdhsa_user_sgpr_private_segment_size 0
		.amdhsa_uses_dynamic_stack 0
		.amdhsa_enable_private_segment 0
		.amdhsa_system_sgpr_workgroup_id_x 1
		.amdhsa_system_sgpr_workgroup_id_y 0
		.amdhsa_system_sgpr_workgroup_id_z 0
		.amdhsa_system_sgpr_workgroup_info 0
		.amdhsa_system_vgpr_workitem_id 0
		.amdhsa_next_free_vgpr 67
		.amdhsa_next_free_sgpr 32
		.amdhsa_accum_offset 68
		.amdhsa_reserve_vcc 1
		.amdhsa_float_round_mode_32 0
		.amdhsa_float_round_mode_16_64 0
		.amdhsa_float_denorm_mode_32 3
		.amdhsa_float_denorm_mode_16_64 3
		.amdhsa_dx10_clamp 1
		.amdhsa_ieee_mode 1
		.amdhsa_fp16_overflow 0
		.amdhsa_tg_split 0
		.amdhsa_exception_fp_ieee_invalid_op 0
		.amdhsa_exception_fp_denorm_src 0
		.amdhsa_exception_fp_ieee_div_zero 0
		.amdhsa_exception_fp_ieee_overflow 0
		.amdhsa_exception_fp_ieee_underflow 0
		.amdhsa_exception_fp_ieee_inexact 0
		.amdhsa_exception_int_div_zero 0
	.end_amdhsa_kernel
	.text
.Lfunc_end0:
	.size	fft_rtc_fwd_len676_factors_13_13_4_wgs_52_tpt_52_half_op_CI_CI_sbrr_dirReg, .Lfunc_end0-fft_rtc_fwd_len676_factors_13_13_4_wgs_52_tpt_52_half_op_CI_CI_sbrr_dirReg
                                        ; -- End function
	.section	.AMDGPU.csdata,"",@progbits
; Kernel info:
; codeLenInByte = 10456
; NumSgprs: 38
; NumVgprs: 67
; NumAgprs: 0
; TotalNumVgprs: 67
; ScratchSize: 0
; MemoryBound: 0
; FloatMode: 240
; IeeeMode: 1
; LDSByteSize: 0 bytes/workgroup (compile time only)
; SGPRBlocks: 4
; VGPRBlocks: 8
; NumSGPRsForWavesPerEU: 38
; NumVGPRsForWavesPerEU: 67
; AccumOffset: 68
; Occupancy: 7
; WaveLimiterHint : 1
; COMPUTE_PGM_RSRC2:SCRATCH_EN: 0
; COMPUTE_PGM_RSRC2:USER_SGPR: 2
; COMPUTE_PGM_RSRC2:TRAP_HANDLER: 0
; COMPUTE_PGM_RSRC2:TGID_X_EN: 1
; COMPUTE_PGM_RSRC2:TGID_Y_EN: 0
; COMPUTE_PGM_RSRC2:TGID_Z_EN: 0
; COMPUTE_PGM_RSRC2:TIDIG_COMP_CNT: 0
; COMPUTE_PGM_RSRC3_GFX90A:ACCUM_OFFSET: 16
; COMPUTE_PGM_RSRC3_GFX90A:TG_SPLIT: 0
	.text
	.p2alignl 6, 3212836864
	.fill 256, 4, 3212836864
	.type	__hip_cuid_87db8d00b1a8dce1,@object ; @__hip_cuid_87db8d00b1a8dce1
	.section	.bss,"aw",@nobits
	.globl	__hip_cuid_87db8d00b1a8dce1
__hip_cuid_87db8d00b1a8dce1:
	.byte	0                               ; 0x0
	.size	__hip_cuid_87db8d00b1a8dce1, 1

	.ident	"AMD clang version 19.0.0git (https://github.com/RadeonOpenCompute/llvm-project roc-6.4.0 25133 c7fe45cf4b819c5991fe208aaa96edf142730f1d)"
	.section	".note.GNU-stack","",@progbits
	.addrsig
	.addrsig_sym __hip_cuid_87db8d00b1a8dce1
	.amdgpu_metadata
---
amdhsa.kernels:
  - .agpr_count:     0
    .args:
      - .actual_access:  read_only
        .address_space:  global
        .offset:         0
        .size:           8
        .value_kind:     global_buffer
      - .offset:         8
        .size:           8
        .value_kind:     by_value
      - .actual_access:  read_only
        .address_space:  global
        .offset:         16
        .size:           8
        .value_kind:     global_buffer
      - .actual_access:  read_only
        .address_space:  global
        .offset:         24
        .size:           8
        .value_kind:     global_buffer
      - .actual_access:  read_only
        .address_space:  global
        .offset:         32
        .size:           8
        .value_kind:     global_buffer
      - .offset:         40
        .size:           8
        .value_kind:     by_value
      - .actual_access:  read_only
        .address_space:  global
        .offset:         48
        .size:           8
        .value_kind:     global_buffer
      - .actual_access:  read_only
        .address_space:  global
        .offset:         56
        .size:           8
        .value_kind:     global_buffer
      - .offset:         64
        .size:           4
        .value_kind:     by_value
      - .actual_access:  read_only
        .address_space:  global
        .offset:         72
        .size:           8
        .value_kind:     global_buffer
      - .actual_access:  read_only
        .address_space:  global
        .offset:         80
        .size:           8
        .value_kind:     global_buffer
      - .actual_access:  read_only
        .address_space:  global
        .offset:         88
        .size:           8
        .value_kind:     global_buffer
      - .actual_access:  write_only
        .address_space:  global
        .offset:         96
        .size:           8
        .value_kind:     global_buffer
    .group_segment_fixed_size: 0
    .kernarg_segment_align: 8
    .kernarg_segment_size: 104
    .language:       OpenCL C
    .language_version:
      - 2
      - 0
    .max_flat_workgroup_size: 52
    .name:           fft_rtc_fwd_len676_factors_13_13_4_wgs_52_tpt_52_half_op_CI_CI_sbrr_dirReg
    .private_segment_fixed_size: 0
    .sgpr_count:     38
    .sgpr_spill_count: 0
    .symbol:         fft_rtc_fwd_len676_factors_13_13_4_wgs_52_tpt_52_half_op_CI_CI_sbrr_dirReg.kd
    .uniform_work_group_size: 1
    .uses_dynamic_stack: false
    .vgpr_count:     67
    .vgpr_spill_count: 0
    .wavefront_size: 64
amdhsa.target:   amdgcn-amd-amdhsa--gfx950
amdhsa.version:
  - 1
  - 2
...

	.end_amdgpu_metadata
